;; amdgpu-corpus repo=huggingface/hf-rocm-kernels kind=compiled arch=gfx90a opt=O3
	.text
	.amdgcn_target "amdgcn-amd-amdhsa--gfx90a"
	.amdhsa_code_object_version 6
	.protected	_Z18_swiglu_vectorizedPK6__halfPKfPhPS_iii ; -- Begin function _Z18_swiglu_vectorizedPK6__halfPKfPhPS_iii
	.globl	_Z18_swiglu_vectorizedPK6__halfPKfPhPS_iii
	.p2align	8
	.type	_Z18_swiglu_vectorizedPK6__halfPKfPhPS_iii,@function
_Z18_swiglu_vectorizedPK6__halfPKfPhPS_iii: ; @_Z18_swiglu_vectorizedPK6__halfPKfPhPS_iii
; %bb.0:
	s_load_dwordx4 s[0:3], s[4:5], 0x20
	s_load_dwordx2 s[12:13], s[4:5], 0x18
	s_load_dword s7, s[4:5], 0x3c
	s_load_dword s14, s[4:5], 0x30
	s_waitcnt lgkmcnt(0)
	s_ashr_i32 s3, s1, 31
	s_lshr_b32 s8, s3, 29
	s_add_i32 s8, s1, s8
	s_ashr_i32 s17, s8, 3
	s_add_u32 s15, s4, 48
	s_addc_u32 s16, s5, 0
	s_abs_i32 s8, s17
	v_cvt_f32_u32_e32 v1, s8
	s_and_b32 s7, s7, 0xffff
	s_mul_i32 s7, s6, s7
	v_rcp_iflag_f32_e32 v2, v1
	v_add_u32_e32 v1, s7, v0
	s_sub_i32 s7, 0, s8
	v_sub_u32_e32 v4, 0, v1
	v_mul_f32_e32 v2, 0x4f7ffffe, v2
	v_cvt_u32_f32_e32 v2, v2
	v_max_i32_e32 v4, v1, v4
	v_xor_b32_e32 v3, s17, v1
	v_ashrrev_i32_e32 v3, 31, v3
	v_mul_lo_u32 v5, s7, v2
	v_mul_hi_u32 v5, v2, v5
	v_add_u32_e32 v2, v2, v5
	v_mul_hi_u32 v2, v4, v2
	v_mul_lo_u32 v5, v2, s8
	v_sub_u32_e32 v4, v4, v5
	v_add_u32_e32 v5, 1, v2
	v_cmp_le_u32_e32 vcc, s8, v4
	v_cndmask_b32_e32 v2, v2, v5, vcc
	v_subrev_u32_e32 v5, s8, v4
	v_cndmask_b32_e32 v4, v4, v5, vcc
	v_add_u32_e32 v5, 1, v2
	v_cmp_le_u32_e32 vcc, s8, v4
	v_cndmask_b32_e32 v2, v2, v5, vcc
	v_xor_b32_e32 v2, v2, v3
	v_sub_u32_e32 v9, v2, v3
	v_cmp_le_i32_e32 vcc, s0, v9
	s_mul_i32 s7, s2, s0
	s_and_saveexec_b64 s[8:9], vcc
	s_xor_b64 s[8:9], exec, s[8:9]
	s_cbranch_execz .LBB0_4
; %bb.1:
	s_cmp_lt_u32 s6, s14
	s_cselect_b32 s0, 12, 18
	s_add_u32 s10, s15, s0
	s_addc_u32 s11, s16, 0
	v_mov_b32_e32 v2, 0
	global_load_ushort v3, v2, s[10:11]
                                        ; implicit-def: $vgpr9
	s_waitcnt vmcnt(0)
	v_readfirstlane_b32 s0, v3
	s_mul_i32 s0, s14, s0
	v_cvt_f32_u32_e32 v1, s0
	s_sub_i32 s10, 0, s0
	s_add_i32 s2, s7, s0
	s_add_i32 s2, s2, -1
	v_rcp_iflag_f32_e32 v1, v1
	v_mul_f32_e32 v1, 0x4f7ffffe, v1
	v_cvt_u32_f32_e32 v1, v1
	v_readfirstlane_b32 s11, v1
	s_mul_i32 s10, s10, s11
	s_mul_hi_u32 s10, s11, s10
	s_add_i32 s11, s11, s10
	s_mul_hi_u32 s10, s2, s11
	s_mul_i32 s11, s10, s0
	s_sub_i32 s2, s2, s11
	s_add_i32 s18, s10, 1
	s_sub_i32 s11, s2, s0
	s_cmp_ge_u32 s2, s0
	s_cselect_b32 s10, s18, s10
	s_cselect_b32 s2, s11, s2
	s_add_i32 s11, s10, 1
	s_cmp_ge_u32 s2, s0
	s_cselect_b32 s2, s11, s10
	s_cmp_lt_i32 s2, 1
                                        ; implicit-def: $vgpr1
	s_cbranch_scc1 .LBB0_4
; %bb.2:
	s_abs_i32 s0, s7
	v_cvt_f32_u32_e32 v1, s0
	s_add_i32 s2, s2, 7
	v_mul_lo_u32 v4, s6, v3
	s_lshr_b32 s2, s2, 3
	v_rcp_iflag_f32_e32 v1, v1
	v_add_u32_e32 v0, v4, v0
	s_sub_i32 s10, 0, s0
	v_mul_lo_u32 v0, s2, v0
	v_mul_f32_e32 v1, 0x4f7ffffe, v1
	v_cvt_u32_f32_e32 v1, v1
	v_lshlrev_b32_e32 v7, 3, v0
	v_mov_b32_e32 v6, s13
	v_mov_b32_e32 v3, v2
	v_mul_lo_u32 v0, s10, v1
	v_mul_hi_u32 v0, v1, v0
	v_add_u32_e32 v8, v1, v0
	v_mov_b32_e32 v4, v2
	v_mov_b32_e32 v5, v2
                                        ; implicit-def: $vgpr0
                                        ; implicit-def: $vgpr9
                                        ; implicit-def: $vgpr1
.LBB0_3:                                ; =>This Inner Loop Header: Depth=1
	v_sub_u32_e32 v11, 0, v7
	v_max_i32_e32 v11, v7, v11
	v_mul_hi_u32 v12, v11, v8
	v_mul_lo_u32 v12, v12, s0
	v_sub_u32_e32 v11, v11, v12
	v_subrev_u32_e32 v12, s0, v11
	v_cmp_le_u32_e32 vcc, s0, v11
	v_cndmask_b32_e32 v11, v11, v12, vcc
	v_subrev_u32_e32 v12, s0, v11
	v_cmp_le_u32_e32 vcc, s0, v11
	v_ashrrev_i32_e32 v10, 31, v7
	v_cndmask_b32_e32 v11, v11, v12, vcc
	v_xor_b32_e32 v11, v11, v10
	v_sub_u32_e32 v10, v11, v10
	v_ashrrev_i32_e32 v11, 31, v10
	v_lshlrev_b64 v[10:11], 1, v[10:11]
	s_add_i32 s2, s2, -1
	v_add_co_u32_e32 v10, vcc, s12, v10
	v_add_u32_e32 v7, 8, v7
	s_cmp_eq_u32 s2, 0
	v_addc_co_u32_e32 v11, vcc, v6, v11, vcc
	global_store_dwordx4 v[10:11], v[2:5], off
	s_cbranch_scc0 .LBB0_3
.LBB0_4:
	s_andn2_saveexec_b64 s[8:9], s[8:9]
	s_cbranch_execz .LBB0_88
; %bb.5:
	s_load_dwordx4 s[8:11], s[4:5], 0x0
	v_mul_lo_u32 v2, v9, s17
	v_sub_u32_e32 v4, v1, v2
	v_mul_lo_u32 v1, s1, v9
	v_lshlrev_b32_e32 v2, 1, v1
	v_ashrrev_i32_e32 v3, 31, v2
	v_lshlrev_b64 v[2:3], 1, v[2:3]
	v_lshlrev_b32_e32 v10, 3, v4
	s_waitcnt lgkmcnt(0)
	v_mov_b32_e32 v5, s9
	v_add_co_u32_e32 v6, vcc, s8, v2
	v_ashrrev_i32_e32 v11, 31, v10
	v_addc_co_u32_e32 v5, vcc, v5, v3, vcc
	v_lshlrev_b64 v[2:3], 1, v[10:11]
	v_add_co_u32_e32 v2, vcc, v6, v2
	v_addc_co_u32_e32 v3, vcc, v5, v3, vcc
	global_load_dwordx4 v[6:9], v[2:3], off
	s_mov_b32 s2, s1
	s_lshl_b64 s[0:1], s[2:3], 1
	v_mov_b32_e32 v4, s1
	v_add_co_u32_e32 v2, vcc, s0, v2
	v_addc_co_u32_e32 v3, vcc, v3, v4, vcc
	global_load_dwordx4 v[2:5], v[2:3], off
	s_load_dword s8, s[10:11], 0x0
	s_mov_b32 s0, 0xbfb8aa3b
	s_mov_b32 s1, 0xc2fc0000
	v_mov_b32_e32 v13, 0x42800000
	v_mov_b32_e32 v16, 0x1f800000
	s_waitcnt lgkmcnt(0)
	v_div_scale_f32 v12, s[2:3], s8, s8, 1.0
	v_rcp_f32_e32 v14, v12
	v_div_scale_f32 v15, vcc, 1.0, s8, 1.0
	s_mov_b32 s9, 0x43600000
	v_fma_f32 v18, -v12, v14, 1.0
	v_fmac_f32_e32 v14, v18, v14
	v_mul_f32_e32 v18, v15, v14
	v_fma_f32 v19, -v12, v18, v15
	v_fmac_f32_e32 v18, v19, v14
	v_fma_f32 v12, -v12, v18, v15
	v_div_fmas_f32 v12, v12, v14, v18
	v_div_fixup_f32 v12, v12, s8, 1.0
	v_cmp_neq_f32_e64 vcc, s8, 0
	v_cndmask_b32_e32 v12, 1.0, v12, vcc
	v_mov_b32_e32 v22, 0xc3600000
	v_mov_b32_e32 v17, 0
	s_movk_i32 s2, 0x7f
	s_waitcnt vmcnt(1)
	v_cvt_f32_f16_e32 v14, v6
	v_cvt_f32_f16_sdwa v15, v6 dst_sel:DWORD dst_unused:UNUSED_PAD src0_sel:WORD_1
	v_pk_mul_f32 v[20:21], v[14:15], s[0:1] op_sel_hi:[1,0]
	v_cmp_gt_f32_e32 vcc, s1, v21
	v_cmp_gt_f32_e64 s[0:1], s1, v20
	s_waitcnt vmcnt(0)
	v_cvt_f32_f16_e32 v18, v2
	v_cvt_f32_f16_sdwa v19, v2 dst_sel:DWORD dst_unused:UNUSED_PAD src0_sel:WORD_1
	v_cndmask_b32_e32 v2, 0, v13, vcc
	v_cndmask_b32_e64 v6, 0, v13, s[0:1]
	v_add_f32_e32 v2, v21, v2
	v_add_f32_e32 v6, v20, v6
	v_exp_f32_e32 v2, v2
	v_exp_f32_e32 v6, v6
	v_cndmask_b32_e32 v13, 1.0, v16, vcc
	v_cndmask_b32_e64 v16, 1.0, v16, s[0:1]
	v_mul_f32_e32 v21, v2, v13
	v_mul_f32_e32 v20, v6, v16
	v_pk_add_f32 v[20:21], v[20:21], 1.0 op_sel_hi:[1,0]
	v_div_scale_f32 v2, s[0:1], v21, v21, v15
	v_div_scale_f32 v13, s[0:1], v20, v20, v14
	v_rcp_f32_e32 v16, v2
	v_rcp_f32_e32 v23, v13
	v_div_scale_f32 v6, vcc, v15, v21, v15
	v_fma_f32 v25, -v2, v16, 1.0
	v_fma_f32 v26, -v13, v23, 1.0
	v_fmac_f32_e32 v16, v25, v16
	v_div_scale_f32 v24, s[0:1], v14, v20, v14
	v_fmac_f32_e32 v23, v26, v23
	v_mul_f32_e32 v25, v6, v16
	v_mul_f32_e32 v26, v24, v23
	v_fma_f32 v27, -v2, v25, v6
	v_fma_f32 v28, -v13, v26, v24
	v_fmac_f32_e32 v25, v27, v16
	v_fmac_f32_e32 v26, v28, v23
	v_fma_f32 v2, -v2, v25, v6
	v_fma_f32 v6, -v13, v26, v24
	v_div_fmas_f32 v2, v2, v16, v25
	s_mov_b64 vcc, s[0:1]
	v_div_fixup_f32 v15, v2, v21, v15
	v_div_fmas_f32 v2, v6, v23, v26
	v_div_fixup_f32 v14, v2, v20, v14
	v_pk_mul_f32 v[14:15], v[14:15], v[18:19]
	v_pk_mul_f32 v[14:15], v[12:13], v[14:15] op_sel_hi:[0,1]
	v_med3_f32 v2, v15, s9, v22
	v_and_b32_e32 v16, 0x7f800000, v2
	s_mov_b64 s[0:1], 0x7f800000
	v_or_b32_sdwa v18, v2, s2 dst_sel:DWORD dst_unused:UNUSED_PAD src0_sel:BYTE_3 src1_sel:DWORD
	v_cmp_ne_u64_e32 vcc, s[0:1], v[16:17]
	s_and_saveexec_b64 s[0:1], vcc
	s_xor_b64 s[2:3], exec, s[0:1]
	s_cbranch_execz .LBB0_15
; %bb.6:
	v_and_b32_e32 v16, 0x7fffffff, v2
	s_mov_b64 s[0:1], 0x43700001
	v_cmp_gt_u64_e32 vcc, s[0:1], v[16:17]
	s_and_saveexec_b64 s[0:1], vcc
	s_xor_b64 s[8:9], exec, s[0:1]
	s_cbranch_execz .LBB0_14
; %bb.7:
	v_cmp_ne_u32_e32 vcc, 0, v2
	v_mov_b32_e32 v18, 0
	s_and_saveexec_b64 s[10:11], vcc
	s_cbranch_execz .LBB0_13
; %bb.8:
	v_bfe_u32 v13, v2, 23, 8
	s_movk_i32 s0, 0x79
	v_sub_u32_e32 v16, 0x78, v13
	v_cmp_gt_u32_e32 vcc, s0, v13
	v_add_u32_e32 v15, 0xffffff81, v13
	v_cndmask_b32_e32 v16, 0, v16, vcc
	v_mov_b32_e32 v19, 0xffffff82
	v_cmp_eq_u32_e32 vcc, 0, v13
	v_and_b32_e32 v6, 0x7fffff, v2
	v_cndmask_b32_e32 v13, v15, v19, vcc
	v_mov_b32_e32 v15, 0x77
	v_or_b32_e32 v18, 0x800000, v6
	v_cndmask_b32_e32 v15, v16, v15, vcc
	v_cndmask_b32_e32 v16, v18, v6, vcc
	v_add_u32_e32 v6, 20, v15
	v_lshlrev_b64 v[18:19], v6, -1
	v_mov_b32_e32 v17, 0
	v_not_b32_e32 v6, v18
	v_and_b32_e32 v18, v16, v6
	v_mov_b32_e32 v19, v17
	v_add_u32_e32 v6, 19, v15
	v_lshrrev_b64 v[16:17], v15, v[16:17]
	v_lshlrev_b64 v[20:21], v6, 1
	v_lshrrev_b32_e32 v6, 23, v16
	v_add3_u32 v15, v15, v13, v6
	v_bfe_u32 v6, v16, 20, 1
	v_add_u32_e32 v6, -1, v6
	v_cmp_eq_u64_e32 vcc, v[18:19], v[20:21]
	v_cndmask_b32_e32 v6, 0, v6, vcc
	v_add_u32_e32 v6, v6, v16
	v_and_b32_e32 v6, 0xfffff, v6
	v_add_co_u32_e32 v16, vcc, v6, v16
	v_add_u32_e32 v13, 7, v15
	v_addc_co_u32_e32 v17, vcc, 0, v17, vcc
	v_cmp_ne_u32_e32 vcc, 0, v13
                                        ; implicit-def: $vgpr6
	s_and_saveexec_b64 s[0:1], vcc
	s_xor_b64 s[0:1], exec, s[0:1]
; %bb.9:
	s_mov_b64 s[18:19], 0xffffff
	v_add_u32_e32 v6, 8, v15
	v_cmp_lt_u64_e32 vcc, s[18:19], v[16:17]
	v_cndmask_b32_e32 v6, v13, v6, vcc
	v_cndmask_b32_e64 v13, 0, 1, vcc
	v_lshrrev_b64 v[16:17], v13, v[16:17]
; %bb.10:
	s_andn2_saveexec_b64 s[0:1], s[0:1]
; %bb.11:
	v_bfe_u32 v6, v16, 23, 1
; %bb.12:
	s_or_b64 exec, exec, s[0:1]
	s_movk_i32 s0, 0x80
	v_lshrrev_b64 v[16:17], 20, v[16:17]
	v_cmp_gt_i32_e32 vcc, 16, v6
	v_and_b32_sdwa v2, v2, s0 dst_sel:DWORD dst_unused:UNUSED_PAD src0_sel:BYTE_3 src1_sel:DWORD
	v_min_i32_e32 v13, 15, v6
	v_cndmask_b32_e32 v17, 0, v17, vcc
	v_cndmask_b32_e32 v16, 7, v16, vcc
	v_cmp_eq_u32_e32 vcc, 0, v6
	v_cmp_eq_u64_e64 s[0:1], 0, v[16:17]
	v_lshl_or_b32 v2, v13, 3, v2
	v_and_or_b32 v2, v16, 7, v2
	s_and_b64 s[0:1], vcc, s[0:1]
	v_cndmask_b32_e64 v18, v2, 0, s[0:1]
.LBB0_13:
	s_or_b64 exec, exec, s[10:11]
.LBB0_14:
	s_andn2_saveexec_b64 s[0:1], s[8:9]
	s_or_b64 exec, exec, s[0:1]
.LBB0_15:
	s_andn2_saveexec_b64 s[0:1], s[2:3]
	s_or_b64 exec, exec, s[0:1]
	s_mov_b32 s0, 0x43600000
	v_mov_b32_e32 v2, 0xc3600000
	v_med3_f32 v2, v14, s0, v2
	s_movk_i32 s0, 0x7f
	v_mov_b32_e32 v15, 0
	v_or_b32_sdwa v16, v2, s0 dst_sel:DWORD dst_unused:UNUSED_PAD src0_sel:BYTE_3 src1_sel:DWORD
	v_and_b32_e32 v14, 0x7f800000, v2
	s_mov_b64 s[0:1], 0x7f800000
	v_cmp_ne_u64_e32 vcc, s[0:1], v[14:15]
	s_and_saveexec_b64 s[0:1], vcc
	s_xor_b64 s[2:3], exec, s[0:1]
	s_cbranch_execz .LBB0_25
; %bb.16:
	v_and_b32_e32 v14, 0x7fffffff, v2
	s_mov_b64 s[0:1], 0x43700001
	v_cmp_gt_u64_e32 vcc, s[0:1], v[14:15]
	s_and_saveexec_b64 s[0:1], vcc
	s_xor_b64 s[8:9], exec, s[0:1]
	s_cbranch_execz .LBB0_24
; %bb.17:
	v_cmp_ne_u32_e32 vcc, 0, v2
	v_mov_b32_e32 v16, 0
	s_and_saveexec_b64 s[10:11], vcc
	s_cbranch_execz .LBB0_23
; %bb.18:
	v_bfe_u32 v13, v2, 23, 8
	s_movk_i32 s0, 0x79
	v_sub_u32_e32 v16, 0x78, v13
	v_cmp_gt_u32_e32 vcc, s0, v13
	v_add_u32_e32 v14, 0xffffff81, v13
	v_cndmask_b32_e32 v16, 0, v16, vcc
	v_mov_b32_e32 v19, 0xffffff82
	v_cmp_eq_u32_e32 vcc, 0, v13
	v_and_b32_e32 v6, 0x7fffff, v2
	v_cndmask_b32_e32 v13, v14, v19, vcc
	v_mov_b32_e32 v14, 0x77
	v_or_b32_e32 v17, 0x800000, v6
	v_cndmask_b32_e32 v19, v16, v14, vcc
	v_cndmask_b32_e32 v14, v17, v6, vcc
	v_add_u32_e32 v6, 20, v19
	v_lshlrev_b64 v[16:17], v6, -1
	v_mov_b32_e32 v15, 0
	v_not_b32_e32 v6, v16
	v_and_b32_e32 v20, v14, v6
	v_mov_b32_e32 v21, v15
	v_add_u32_e32 v6, 19, v19
	v_lshrrev_b64 v[14:15], v19, v[14:15]
	v_lshlrev_b64 v[22:23], v6, 1
	v_lshrrev_b32_e32 v6, 23, v14
	v_add3_u32 v16, v19, v13, v6
	v_bfe_u32 v6, v14, 20, 1
	v_add_u32_e32 v6, -1, v6
	v_cmp_eq_u64_e32 vcc, v[20:21], v[22:23]
	v_cndmask_b32_e32 v6, 0, v6, vcc
	v_add_u32_e32 v6, v6, v14
	v_and_b32_e32 v6, 0xfffff, v6
	v_add_co_u32_e32 v14, vcc, v6, v14
	v_add_u32_e32 v13, 7, v16
	v_addc_co_u32_e32 v15, vcc, 0, v15, vcc
	v_cmp_ne_u32_e32 vcc, 0, v13
                                        ; implicit-def: $vgpr6
	s_and_saveexec_b64 s[0:1], vcc
	s_xor_b64 s[0:1], exec, s[0:1]
; %bb.19:
	s_mov_b64 s[18:19], 0xffffff
	v_add_u32_e32 v6, 8, v16
	v_cmp_lt_u64_e32 vcc, s[18:19], v[14:15]
	v_cndmask_b32_e32 v6, v13, v6, vcc
	v_cndmask_b32_e64 v13, 0, 1, vcc
	v_lshrrev_b64 v[14:15], v13, v[14:15]
; %bb.20:
	s_andn2_saveexec_b64 s[0:1], s[0:1]
; %bb.21:
	v_bfe_u32 v6, v14, 23, 1
; %bb.22:
	s_or_b64 exec, exec, s[0:1]
	s_movk_i32 s0, 0x80
	v_lshrrev_b64 v[14:15], 20, v[14:15]
	v_cmp_gt_i32_e32 vcc, 16, v6
	v_and_b32_sdwa v2, v2, s0 dst_sel:DWORD dst_unused:UNUSED_PAD src0_sel:BYTE_3 src1_sel:DWORD
	v_min_i32_e32 v13, 15, v6
	v_cndmask_b32_e32 v15, 0, v15, vcc
	v_cndmask_b32_e32 v14, 7, v14, vcc
	v_cmp_eq_u32_e32 vcc, 0, v6
	v_cmp_eq_u64_e64 s[0:1], 0, v[14:15]
	v_lshl_or_b32 v2, v13, 3, v2
	v_and_or_b32 v2, v14, 7, v2
	s_and_b64 s[0:1], vcc, s[0:1]
	v_cndmask_b32_e64 v16, v2, 0, s[0:1]
.LBB0_23:
	s_or_b64 exec, exec, s[10:11]
.LBB0_24:
	s_andn2_saveexec_b64 s[0:1], s[8:9]
	s_or_b64 exec, exec, s[0:1]
.LBB0_25:
	s_or_saveexec_b64 s[0:1], s[2:3]
	v_mov_b32_e32 v13, v12
	s_xor_b64 exec, exec, s[0:1]
	s_or_b64 exec, exec, s[0:1]
	v_cvt_f32_f16_sdwa v15, v7 dst_sel:DWORD dst_unused:UNUSED_PAD src0_sel:WORD_1
	v_cvt_f32_f16_e32 v14, v7
	s_mov_b32 s0, 0xbfb8aa3b
	s_mov_b32 s1, 0xc2fc0000
	v_mov_b32_e32 v2, 0x42800000
	v_pk_mul_f32 v[6:7], v[14:15], s[0:1] op_sel_hi:[1,0]
	v_cmp_gt_f32_e32 vcc, s1, v7
	v_cndmask_b32_e32 v17, 0, v2, vcc
	v_cmp_gt_f32_e64 s[0:1], s1, v6
	v_add_f32_e32 v7, v7, v17
	v_cndmask_b32_e64 v2, 0, v2, s[0:1]
	v_exp_f32_e32 v7, v7
	v_add_f32_e32 v2, v6, v2
	v_exp_f32_e32 v2, v2
	v_mov_b32_e32 v17, 0x1f800000
	v_cndmask_b32_e32 v6, 1.0, v17, vcc
	v_mul_f32_e32 v7, v7, v6
	v_cndmask_b32_e64 v6, 1.0, v17, s[0:1]
	v_mul_f32_e32 v6, v2, v6
	v_pk_add_f32 v[6:7], v[6:7], 1.0 op_sel_hi:[1,0]
	v_div_scale_f32 v2, s[0:1], v7, v7, v15
	v_rcp_f32_e32 v17, v2
	v_fma_f32 v19, -v2, v17, 1.0
	v_fmac_f32_e32 v17, v19, v17
	v_div_scale_f32 v19, vcc, v15, v7, v15
	v_mul_f32_e32 v20, v19, v17
	v_fma_f32 v21, -v2, v20, v19
	v_fmac_f32_e32 v20, v21, v17
	v_fma_f32 v2, -v2, v20, v19
	v_div_scale_f32 v19, s[0:1], v6, v6, v14
	v_rcp_f32_e32 v22, v19
	v_div_fmas_f32 v2, v2, v17, v20
	v_div_fixup_f32 v7, v2, v7, v15
	v_cvt_f32_f16_sdwa v21, v3 dst_sel:DWORD dst_unused:UNUSED_PAD src0_sel:WORD_1
	v_fma_f32 v2, -v19, v22, 1.0
	v_fmac_f32_e32 v22, v2, v22
	v_div_scale_f32 v2, vcc, v14, v6, v14
	v_mul_f32_e32 v15, v2, v22
	v_fma_f32 v17, -v19, v15, v2
	v_fmac_f32_e32 v15, v17, v22
	v_cvt_f32_f16_e32 v20, v3
	v_fma_f32 v2, -v19, v15, v2
	v_div_fmas_f32 v2, v2, v22, v15
	v_div_fixup_f32 v6, v2, v6, v14
	v_pk_mul_f32 v[2:3], v[6:7], v[20:21]
	v_pk_mul_f32 v[2:3], v[12:13], v[2:3]
	s_mov_b32 s0, 0x43600000
	v_mov_b32_e32 v6, 0xc3600000
	v_med3_f32 v3, v3, s0, v6
	s_movk_i32 s0, 0x7f
	v_mov_b32_e32 v7, 0
	v_or_b32_sdwa v14, v3, s0 dst_sel:DWORD dst_unused:UNUSED_PAD src0_sel:BYTE_3 src1_sel:DWORD
	v_and_b32_e32 v6, 0x7f800000, v3
	s_mov_b64 s[0:1], 0x7f800000
	v_cmp_ne_u64_e32 vcc, s[0:1], v[6:7]
	s_and_saveexec_b64 s[0:1], vcc
	s_xor_b64 s[2:3], exec, s[0:1]
	s_cbranch_execz .LBB0_35
; %bb.26:
	v_and_b32_e32 v6, 0x7fffffff, v3
	s_mov_b64 s[0:1], 0x43700001
	v_cmp_gt_u64_e32 vcc, s[0:1], v[6:7]
	s_and_saveexec_b64 s[0:1], vcc
	s_xor_b64 s[8:9], exec, s[0:1]
	s_cbranch_execz .LBB0_34
; %bb.27:
	v_cmp_ne_u32_e32 vcc, 0, v3
	v_mov_b32_e32 v14, 0
	s_and_saveexec_b64 s[10:11], vcc
	s_cbranch_execz .LBB0_33
; %bb.28:
	v_bfe_u32 v14, v3, 23, 8
	s_movk_i32 s0, 0x79
	v_sub_u32_e32 v17, 0x78, v14
	v_cmp_gt_u32_e32 vcc, s0, v14
	v_add_u32_e32 v15, 0xffffff81, v14
	v_cndmask_b32_e32 v17, 0, v17, vcc
	v_cmp_eq_u32_e32 vcc, 0, v14
	v_mov_b32_e32 v14, 0x77
	v_cndmask_b32_e32 v17, v17, v14, vcc
	v_and_b32_e32 v6, 0x7fffff, v3
	v_mov_b32_e32 v20, 0xffffff82
	v_add_u32_e32 v14, 20, v17
	v_or_b32_e32 v19, 0x800000, v6
	v_cndmask_b32_e32 v24, v15, v20, vcc
	v_lshlrev_b64 v[14:15], v14, -1
	v_mov_b32_e32 v7, 0
	v_cndmask_b32_e32 v6, v19, v6, vcc
	v_not_b32_e32 v14, v14
	v_and_b32_e32 v20, v6, v14
	v_mov_b32_e32 v21, v7
	v_add_u32_e32 v14, 19, v17
	v_lshrrev_b64 v[6:7], v17, v[6:7]
	v_lshlrev_b64 v[22:23], v14, 1
	v_lshrrev_b32_e32 v14, 23, v6
	v_add3_u32 v17, v17, v24, v14
	v_bfe_u32 v14, v6, 20, 1
	v_add_u32_e32 v14, -1, v14
	v_cmp_eq_u64_e32 vcc, v[20:21], v[22:23]
	v_cndmask_b32_e32 v14, 0, v14, vcc
	v_add_u32_e32 v14, v14, v6
	v_and_b32_e32 v14, 0xfffff, v14
	v_add_co_u32_e32 v6, vcc, v14, v6
	v_add_u32_e32 v15, 7, v17
	v_addc_co_u32_e32 v7, vcc, 0, v7, vcc
	v_cmp_ne_u32_e32 vcc, 0, v15
                                        ; implicit-def: $vgpr14
	s_and_saveexec_b64 s[0:1], vcc
	s_xor_b64 s[0:1], exec, s[0:1]
; %bb.29:
	s_mov_b64 s[18:19], 0xffffff
	v_add_u32_e32 v14, 8, v17
	v_cmp_lt_u64_e32 vcc, s[18:19], v[6:7]
	v_cndmask_b32_e32 v14, v15, v14, vcc
	v_cndmask_b32_e64 v15, 0, 1, vcc
	v_lshrrev_b64 v[6:7], v15, v[6:7]
; %bb.30:
	s_andn2_saveexec_b64 s[0:1], s[0:1]
; %bb.31:
	v_bfe_u32 v14, v6, 23, 1
; %bb.32:
	s_or_b64 exec, exec, s[0:1]
	s_movk_i32 s0, 0x80
	v_lshrrev_b64 v[6:7], 20, v[6:7]
	v_cmp_gt_i32_e32 vcc, 16, v14
	v_and_b32_sdwa v3, v3, s0 dst_sel:DWORD dst_unused:UNUSED_PAD src0_sel:BYTE_3 src1_sel:DWORD
	v_min_i32_e32 v15, 15, v14
	v_cndmask_b32_e32 v7, 0, v7, vcc
	v_cndmask_b32_e32 v6, 7, v6, vcc
	v_cmp_eq_u32_e32 vcc, 0, v14
	v_cmp_eq_u64_e64 s[0:1], 0, v[6:7]
	v_lshl_or_b32 v3, v15, 3, v3
	v_and_or_b32 v3, v6, 7, v3
	s_and_b64 s[0:1], vcc, s[0:1]
	v_cndmask_b32_e64 v14, v3, 0, s[0:1]
.LBB0_33:
	s_or_b64 exec, exec, s[10:11]
.LBB0_34:
	s_andn2_saveexec_b64 s[0:1], s[8:9]
	s_or_b64 exec, exec, s[0:1]
.LBB0_35:
	s_andn2_saveexec_b64 s[0:1], s[2:3]
	s_or_b64 exec, exec, s[0:1]
	s_mov_b32 s0, 0x43600000
	v_mov_b32_e32 v3, 0xc3600000
	v_med3_f32 v6, v2, s0, v3
	s_movk_i32 s0, 0x7f
	v_mov_b32_e32 v3, 0
	v_or_b32_sdwa v15, v6, s0 dst_sel:DWORD dst_unused:UNUSED_PAD src0_sel:BYTE_3 src1_sel:DWORD
	v_and_b32_e32 v2, 0x7f800000, v6
	s_mov_b64 s[0:1], 0x7f800000
	v_cmp_ne_u64_e32 vcc, s[0:1], v[2:3]
	s_and_saveexec_b64 s[0:1], vcc
	s_xor_b64 s[2:3], exec, s[0:1]
	s_cbranch_execz .LBB0_45
; %bb.36:
	v_and_b32_e32 v2, 0x7fffffff, v6
	s_mov_b64 s[0:1], 0x43700001
	v_cmp_gt_u64_e32 vcc, s[0:1], v[2:3]
	s_and_saveexec_b64 s[0:1], vcc
	s_xor_b64 s[8:9], exec, s[0:1]
	s_cbranch_execz .LBB0_44
; %bb.37:
	v_cmp_ne_u32_e32 vcc, 0, v6
	v_mov_b32_e32 v15, 0
	s_and_saveexec_b64 s[10:11], vcc
	s_cbranch_execz .LBB0_43
; %bb.38:
	v_bfe_u32 v7, v6, 23, 8
	s_movk_i32 s0, 0x79
	v_sub_u32_e32 v17, 0x78, v7
	v_cmp_gt_u32_e32 vcc, s0, v7
	v_add_u32_e32 v15, 0xffffff81, v7
	v_cndmask_b32_e32 v17, 0, v17, vcc
	v_mov_b32_e32 v20, 0xffffff82
	v_cmp_eq_u32_e32 vcc, 0, v7
	v_cndmask_b32_e32 v7, v15, v20, vcc
	v_mov_b32_e32 v15, 0x77
	v_cndmask_b32_e32 v15, v17, v15, vcc
	v_and_b32_e32 v2, 0x7fffff, v6
	v_add_u32_e32 v17, 20, v15
	v_or_b32_e32 v19, 0x800000, v2
	v_lshlrev_b64 v[20:21], v17, -1
	v_mov_b32_e32 v3, 0
	v_cndmask_b32_e32 v2, v19, v2, vcc
	v_not_b32_e32 v17, v20
	v_and_b32_e32 v20, v2, v17
	v_mov_b32_e32 v21, v3
	v_add_u32_e32 v17, 19, v15
	v_lshrrev_b64 v[2:3], v15, v[2:3]
	v_lshlrev_b64 v[22:23], v17, 1
	v_lshrrev_b32_e32 v17, 23, v2
	v_add3_u32 v17, v15, v7, v17
	v_bfe_u32 v7, v2, 20, 1
	v_add_u32_e32 v7, -1, v7
	v_cmp_eq_u64_e32 vcc, v[20:21], v[22:23]
	v_cndmask_b32_e32 v7, 0, v7, vcc
	v_add_u32_e32 v7, v7, v2
	v_and_b32_e32 v7, 0xfffff, v7
	v_add_co_u32_e32 v2, vcc, v7, v2
	v_add_u32_e32 v15, 7, v17
	v_addc_co_u32_e32 v3, vcc, 0, v3, vcc
	v_cmp_ne_u32_e32 vcc, 0, v15
                                        ; implicit-def: $vgpr7
	s_and_saveexec_b64 s[0:1], vcc
	s_xor_b64 s[0:1], exec, s[0:1]
; %bb.39:
	s_mov_b64 s[18:19], 0xffffff
	v_add_u32_e32 v7, 8, v17
	v_cmp_lt_u64_e32 vcc, s[18:19], v[2:3]
	v_cndmask_b32_e32 v7, v15, v7, vcc
	v_cndmask_b32_e64 v15, 0, 1, vcc
	v_lshrrev_b64 v[2:3], v15, v[2:3]
; %bb.40:
	s_andn2_saveexec_b64 s[0:1], s[0:1]
; %bb.41:
	v_bfe_u32 v7, v2, 23, 1
; %bb.42:
	s_or_b64 exec, exec, s[0:1]
	s_movk_i32 s0, 0x80
	v_lshrrev_b64 v[2:3], 20, v[2:3]
	v_cmp_gt_i32_e32 vcc, 16, v7
	v_and_b32_sdwa v6, v6, s0 dst_sel:DWORD dst_unused:UNUSED_PAD src0_sel:BYTE_3 src1_sel:DWORD
	v_min_i32_e32 v15, 15, v7
	v_cndmask_b32_e32 v3, 0, v3, vcc
	v_cndmask_b32_e32 v2, 7, v2, vcc
	v_cmp_eq_u32_e32 vcc, 0, v7
	v_cmp_eq_u64_e64 s[0:1], 0, v[2:3]
	v_lshl_or_b32 v3, v15, 3, v6
	v_and_or_b32 v2, v2, 7, v3
	s_and_b64 s[0:1], vcc, s[0:1]
	v_cndmask_b32_e64 v15, v2, 0, s[0:1]
.LBB0_43:
	s_or_b64 exec, exec, s[10:11]
.LBB0_44:
	s_andn2_saveexec_b64 s[0:1], s[8:9]
	s_or_b64 exec, exec, s[0:1]
.LBB0_45:
	s_andn2_saveexec_b64 s[0:1], s[2:3]
	s_or_b64 exec, exec, s[0:1]
	v_cvt_f32_f16_sdwa v3, v8 dst_sel:DWORD dst_unused:UNUSED_PAD src0_sel:WORD_1
	v_cvt_f32_f16_e32 v2, v8
	s_mov_b32 s0, 0xbfb8aa3b
	s_mov_b32 s1, 0xc2fc0000
	v_mov_b32_e32 v8, 0x42800000
	v_pk_mul_f32 v[6:7], v[2:3], s[0:1] op_sel_hi:[1,0]
	v_cmp_gt_f32_e32 vcc, s1, v7
	v_cndmask_b32_e32 v17, 0, v8, vcc
	v_cmp_gt_f32_e64 s[0:1], s1, v6
	v_add_f32_e32 v7, v7, v17
	v_cndmask_b32_e64 v8, 0, v8, s[0:1]
	v_exp_f32_e32 v7, v7
	v_add_f32_e32 v6, v6, v8
	v_exp_f32_e32 v6, v6
	v_mov_b32_e32 v17, 0x1f800000
	v_cndmask_b32_e32 v8, 1.0, v17, vcc
	v_mul_f32_e32 v7, v7, v8
	v_cndmask_b32_e64 v8, 1.0, v17, s[0:1]
	v_mul_f32_e32 v6, v6, v8
	v_pk_add_f32 v[6:7], v[6:7], 1.0 op_sel_hi:[1,0]
	v_div_scale_f32 v8, s[0:1], v7, v7, v3
	v_rcp_f32_e32 v17, v8
	v_fma_f32 v19, -v8, v17, 1.0
	v_fmac_f32_e32 v17, v19, v17
	v_div_scale_f32 v19, vcc, v3, v7, v3
	v_mul_f32_e32 v20, v19, v17
	v_fma_f32 v21, -v8, v20, v19
	v_fmac_f32_e32 v20, v21, v17
	v_fma_f32 v8, -v8, v20, v19
	v_div_scale_f32 v19, s[0:1], v6, v6, v2
	v_rcp_f32_e32 v22, v19
	v_div_fmas_f32 v8, v8, v17, v20
	v_div_fixup_f32 v3, v8, v7, v3
	v_cvt_f32_f16_sdwa v21, v4 dst_sel:DWORD dst_unused:UNUSED_PAD src0_sel:WORD_1
	v_fma_f32 v7, -v19, v22, 1.0
	v_fmac_f32_e32 v22, v7, v22
	v_div_scale_f32 v7, vcc, v2, v6, v2
	v_mul_f32_e32 v8, v7, v22
	v_fma_f32 v17, -v19, v8, v7
	v_fmac_f32_e32 v8, v17, v22
	v_cvt_f32_f16_e32 v20, v4
	v_fma_f32 v7, -v19, v8, v7
	v_div_fmas_f32 v4, v7, v22, v8
	v_div_fixup_f32 v2, v4, v6, v2
	v_pk_mul_f32 v[2:3], v[2:3], v[20:21]
	v_pk_mul_f32 v[2:3], v[12:13], v[2:3]
	s_mov_b32 s0, 0x43600000
	v_mov_b32_e32 v4, 0xc3600000
	v_med3_f32 v3, v3, s0, v4
	s_movk_i32 s0, 0x7f
	v_mov_b32_e32 v7, 0
	v_or_b32_sdwa v8, v3, s0 dst_sel:DWORD dst_unused:UNUSED_PAD src0_sel:BYTE_3 src1_sel:DWORD
	v_and_b32_e32 v6, 0x7f800000, v3
	s_mov_b64 s[0:1], 0x7f800000
	v_cmp_ne_u64_e32 vcc, s[0:1], v[6:7]
	s_and_saveexec_b64 s[0:1], vcc
	s_xor_b64 s[2:3], exec, s[0:1]
	s_cbranch_execz .LBB0_55
; %bb.46:
	v_and_b32_e32 v6, 0x7fffffff, v3
	s_mov_b64 s[0:1], 0x43700001
	v_cmp_gt_u64_e32 vcc, s[0:1], v[6:7]
	s_and_saveexec_b64 s[0:1], vcc
	s_xor_b64 s[8:9], exec, s[0:1]
	s_cbranch_execz .LBB0_54
; %bb.47:
	v_cmp_ne_u32_e32 vcc, 0, v3
	v_mov_b32_e32 v8, 0
	s_and_saveexec_b64 s[10:11], vcc
	s_cbranch_execz .LBB0_53
; %bb.48:
	v_bfe_u32 v6, v3, 23, 8
	s_movk_i32 s0, 0x79
	v_sub_u32_e32 v17, 0x78, v6
	v_cmp_gt_u32_e32 vcc, s0, v6
	v_and_b32_e32 v4, 0x7fffff, v3
	v_add_u32_e32 v8, 0xffffff81, v6
	v_cndmask_b32_e32 v17, 0, v17, vcc
	v_cmp_eq_u32_e32 vcc, 0, v6
	v_mov_b32_e32 v6, 0x77
	v_or_b32_e32 v19, 0x800000, v4
	v_cndmask_b32_e32 v17, v17, v6, vcc
	v_mov_b32_e32 v20, 0xffffff82
	v_cndmask_b32_e32 v6, v19, v4, vcc
	v_add_u32_e32 v4, 20, v17
	v_cndmask_b32_e32 v8, v8, v20, vcc
	v_lshlrev_b64 v[20:21], v4, -1
	v_mov_b32_e32 v7, 0
	v_not_b32_e32 v4, v20
	v_and_b32_e32 v20, v6, v4
	v_mov_b32_e32 v21, v7
	v_add_u32_e32 v4, 19, v17
	v_lshrrev_b64 v[6:7], v17, v[6:7]
	v_lshlrev_b64 v[22:23], v4, 1
	v_lshrrev_b32_e32 v4, 23, v6
	v_add3_u32 v17, v17, v8, v4
	v_bfe_u32 v4, v6, 20, 1
	v_add_u32_e32 v4, -1, v4
	v_cmp_eq_u64_e32 vcc, v[20:21], v[22:23]
	v_cndmask_b32_e32 v4, 0, v4, vcc
	v_add_u32_e32 v4, v4, v6
	v_and_b32_e32 v4, 0xfffff, v4
	v_add_co_u32_e32 v6, vcc, v4, v6
	v_add_u32_e32 v8, 7, v17
	v_addc_co_u32_e32 v7, vcc, 0, v7, vcc
	v_cmp_ne_u32_e32 vcc, 0, v8
                                        ; implicit-def: $vgpr4
	s_and_saveexec_b64 s[0:1], vcc
	s_xor_b64 s[0:1], exec, s[0:1]
; %bb.49:
	s_mov_b64 s[18:19], 0xffffff
	v_add_u32_e32 v4, 8, v17
	v_cmp_lt_u64_e32 vcc, s[18:19], v[6:7]
	v_cndmask_b32_e32 v4, v8, v4, vcc
	v_cndmask_b32_e64 v8, 0, 1, vcc
	v_lshrrev_b64 v[6:7], v8, v[6:7]
; %bb.50:
	s_andn2_saveexec_b64 s[0:1], s[0:1]
; %bb.51:
	v_bfe_u32 v4, v6, 23, 1
; %bb.52:
	s_or_b64 exec, exec, s[0:1]
	s_movk_i32 s0, 0x80
	v_lshrrev_b64 v[6:7], 20, v[6:7]
	v_cmp_gt_i32_e32 vcc, 16, v4
	v_and_b32_sdwa v3, v3, s0 dst_sel:DWORD dst_unused:UNUSED_PAD src0_sel:BYTE_3 src1_sel:DWORD
	v_min_i32_e32 v8, 15, v4
	v_cndmask_b32_e32 v7, 0, v7, vcc
	v_cndmask_b32_e32 v6, 7, v6, vcc
	v_cmp_eq_u32_e32 vcc, 0, v4
	v_cmp_eq_u64_e64 s[0:1], 0, v[6:7]
	v_lshl_or_b32 v3, v8, 3, v3
	v_and_or_b32 v3, v6, 7, v3
	s_and_b64 s[0:1], vcc, s[0:1]
	v_cndmask_b32_e64 v8, v3, 0, s[0:1]
.LBB0_53:
	s_or_b64 exec, exec, s[10:11]
.LBB0_54:
	s_andn2_saveexec_b64 s[0:1], s[8:9]
	s_or_b64 exec, exec, s[0:1]
.LBB0_55:
	s_andn2_saveexec_b64 s[0:1], s[2:3]
	s_or_b64 exec, exec, s[0:1]
	s_mov_b32 s0, 0x43600000
	v_mov_b32_e32 v3, 0xc3600000
	v_med3_f32 v4, v2, s0, v3
	s_movk_i32 s0, 0x7f
	v_mov_b32_e32 v3, 0
	v_or_b32_sdwa v6, v4, s0 dst_sel:DWORD dst_unused:UNUSED_PAD src0_sel:BYTE_3 src1_sel:DWORD
	v_and_b32_e32 v2, 0x7f800000, v4
	s_mov_b64 s[0:1], 0x7f800000
	v_cmp_ne_u64_e32 vcc, s[0:1], v[2:3]
	s_and_saveexec_b64 s[0:1], vcc
	s_xor_b64 s[2:3], exec, s[0:1]
	s_cbranch_execz .LBB0_65
; %bb.56:
	v_and_b32_e32 v2, 0x7fffffff, v4
	s_mov_b64 s[0:1], 0x43700001
	v_cmp_gt_u64_e32 vcc, s[0:1], v[2:3]
	s_and_saveexec_b64 s[0:1], vcc
	s_xor_b64 s[8:9], exec, s[0:1]
	s_cbranch_execz .LBB0_64
; %bb.57:
	v_cmp_ne_u32_e32 vcc, 0, v4
	v_mov_b32_e32 v6, 0
	s_and_saveexec_b64 s[10:11], vcc
	s_cbranch_execz .LBB0_63
; %bb.58:
	v_bfe_u32 v6, v4, 23, 8
	s_movk_i32 s0, 0x79
	v_sub_u32_e32 v17, 0x78, v6
	v_cmp_gt_u32_e32 vcc, s0, v6
	v_add_u32_e32 v7, 0xffffff81, v6
	v_cndmask_b32_e32 v17, 0, v17, vcc
	v_cmp_eq_u32_e32 vcc, 0, v6
	v_mov_b32_e32 v6, 0x77
	v_cndmask_b32_e32 v17, v17, v6, vcc
	v_and_b32_e32 v2, 0x7fffff, v4
	v_mov_b32_e32 v20, 0xffffff82
	v_add_u32_e32 v6, 20, v17
	v_or_b32_e32 v19, 0x800000, v2
	v_cndmask_b32_e32 v24, v7, v20, vcc
	v_lshlrev_b64 v[6:7], v6, -1
	v_mov_b32_e32 v3, 0
	v_cndmask_b32_e32 v2, v19, v2, vcc
	v_not_b32_e32 v6, v6
	v_and_b32_e32 v20, v2, v6
	v_mov_b32_e32 v21, v3
	v_add_u32_e32 v6, 19, v17
	v_lshrrev_b64 v[2:3], v17, v[2:3]
	v_lshlrev_b64 v[22:23], v6, 1
	v_lshrrev_b32_e32 v6, 23, v2
	v_add3_u32 v17, v17, v24, v6
	v_bfe_u32 v6, v2, 20, 1
	v_add_u32_e32 v6, -1, v6
	v_cmp_eq_u64_e32 vcc, v[20:21], v[22:23]
	v_cndmask_b32_e32 v6, 0, v6, vcc
	v_add_u32_e32 v6, v6, v2
	v_and_b32_e32 v6, 0xfffff, v6
	v_add_co_u32_e32 v2, vcc, v6, v2
	v_add_u32_e32 v7, 7, v17
	v_addc_co_u32_e32 v3, vcc, 0, v3, vcc
	v_cmp_ne_u32_e32 vcc, 0, v7
                                        ; implicit-def: $vgpr6
	s_and_saveexec_b64 s[0:1], vcc
	s_xor_b64 s[0:1], exec, s[0:1]
; %bb.59:
	s_mov_b64 s[18:19], 0xffffff
	v_add_u32_e32 v6, 8, v17
	v_cmp_lt_u64_e32 vcc, s[18:19], v[2:3]
	v_cndmask_b32_e32 v6, v7, v6, vcc
	v_cndmask_b32_e64 v7, 0, 1, vcc
	v_lshrrev_b64 v[2:3], v7, v[2:3]
; %bb.60:
	s_andn2_saveexec_b64 s[0:1], s[0:1]
; %bb.61:
	v_bfe_u32 v6, v2, 23, 1
; %bb.62:
	s_or_b64 exec, exec, s[0:1]
	s_movk_i32 s0, 0x80
	v_lshrrev_b64 v[2:3], 20, v[2:3]
	v_cmp_gt_i32_e32 vcc, 16, v6
	v_and_b32_sdwa v4, v4, s0 dst_sel:DWORD dst_unused:UNUSED_PAD src0_sel:BYTE_3 src1_sel:DWORD
	v_min_i32_e32 v7, 15, v6
	v_cndmask_b32_e32 v3, 0, v3, vcc
	v_cndmask_b32_e32 v2, 7, v2, vcc
	v_cmp_eq_u32_e32 vcc, 0, v6
	v_cmp_eq_u64_e64 s[0:1], 0, v[2:3]
	v_lshl_or_b32 v3, v7, 3, v4
	v_and_or_b32 v2, v2, 7, v3
	s_and_b64 s[0:1], vcc, s[0:1]
	v_cndmask_b32_e64 v6, v2, 0, s[0:1]
.LBB0_63:
	s_or_b64 exec, exec, s[10:11]
.LBB0_64:
	s_andn2_saveexec_b64 s[0:1], s[8:9]
	s_or_b64 exec, exec, s[0:1]
.LBB0_65:
	s_andn2_saveexec_b64 s[0:1], s[2:3]
	s_or_b64 exec, exec, s[0:1]
	v_cvt_f32_f16_sdwa v3, v9 dst_sel:DWORD dst_unused:UNUSED_PAD src0_sel:WORD_1
	v_cvt_f32_f16_e32 v2, v9
	s_mov_b32 s0, 0xbfb8aa3b
	s_mov_b32 s1, 0xc2fc0000
	v_mov_b32_e32 v4, 0x42800000
	v_pk_mul_f32 v[20:21], v[2:3], s[0:1] op_sel_hi:[1,0]
	v_cmp_gt_f32_e32 vcc, s1, v21
	v_cndmask_b32_e32 v7, 0, v4, vcc
	v_cmp_gt_f32_e64 s[0:1], s1, v20
	v_add_f32_e32 v7, v21, v7
	v_cndmask_b32_e64 v4, 0, v4, s[0:1]
	v_exp_f32_e32 v7, v7
	v_add_f32_e32 v4, v20, v4
	v_exp_f32_e32 v4, v4
	v_mov_b32_e32 v9, 0x1f800000
	v_cndmask_b32_e32 v17, 1.0, v9, vcc
	v_mul_f32_e32 v21, v7, v17
	v_cndmask_b32_e64 v7, 1.0, v9, s[0:1]
	v_mul_f32_e32 v20, v4, v7
	v_pk_add_f32 v[20:21], v[20:21], 1.0 op_sel_hi:[1,0]
	v_div_scale_f32 v4, s[0:1], v21, v21, v3
	v_rcp_f32_e32 v7, v4
	v_cvt_f32_f16_sdwa v23, v5 dst_sel:DWORD dst_unused:UNUSED_PAD src0_sel:WORD_1
	v_cvt_f32_f16_e32 v22, v5
	v_mov_b32_e32 v5, 0
	v_fma_f32 v9, -v4, v7, 1.0
	v_fmac_f32_e32 v7, v9, v7
	v_div_scale_f32 v9, vcc, v3, v21, v3
	v_mul_f32_e32 v17, v9, v7
	v_fma_f32 v19, -v4, v17, v9
	v_fmac_f32_e32 v17, v19, v7
	v_fma_f32 v4, -v4, v17, v9
	v_div_scale_f32 v9, s[0:1], v20, v20, v2
	v_rcp_f32_e32 v19, v9
	v_div_fmas_f32 v4, v4, v7, v17
	v_div_fixup_f32 v3, v4, v21, v3
	s_mov_b32 s0, 0x43600000
	v_fma_f32 v4, -v9, v19, 1.0
	v_fmac_f32_e32 v19, v4, v19
	v_div_scale_f32 v4, vcc, v2, v20, v2
	v_mul_f32_e32 v7, v4, v19
	v_fma_f32 v17, -v9, v7, v4
	v_fmac_f32_e32 v7, v17, v19
	v_fma_f32 v4, -v9, v7, v4
	v_div_fmas_f32 v4, v4, v19, v7
	v_div_fixup_f32 v2, v4, v20, v2
	v_pk_mul_f32 v[2:3], v[2:3], v[22:23]
	v_pk_mul_f32 v[2:3], v[12:13], v[2:3]
	v_mov_b32_e32 v4, 0xc3600000
	v_med3_f32 v3, v3, s0, v4
	s_movk_i32 s0, 0x7f
	v_or_b32_sdwa v7, v3, s0 dst_sel:DWORD dst_unused:UNUSED_PAD src0_sel:BYTE_3 src1_sel:DWORD
	v_and_b32_e32 v4, 0x7f800000, v3
	s_mov_b64 s[0:1], 0x7f800000
	v_cmp_ne_u64_e32 vcc, s[0:1], v[4:5]
	s_and_saveexec_b64 s[0:1], vcc
	s_xor_b64 s[2:3], exec, s[0:1]
	s_cbranch_execz .LBB0_75
; %bb.66:
	v_and_b32_e32 v4, 0x7fffffff, v3
	s_mov_b64 s[0:1], 0x43700001
	v_cmp_gt_u64_e32 vcc, s[0:1], v[4:5]
	s_and_saveexec_b64 s[0:1], vcc
	s_xor_b64 s[8:9], exec, s[0:1]
	s_cbranch_execz .LBB0_74
; %bb.67:
	v_cmp_ne_u32_e32 vcc, 0, v3
	v_mov_b32_e32 v7, 0
	s_and_saveexec_b64 s[10:11], vcc
	s_cbranch_execz .LBB0_73
; %bb.68:
	v_bfe_u32 v7, v3, 23, 8
	s_movk_i32 s0, 0x79
	v_sub_u32_e32 v12, 0x78, v7
	v_cmp_gt_u32_e32 vcc, s0, v7
	v_add_u32_e32 v9, 0xffffff81, v7
	v_cndmask_b32_e32 v12, 0, v12, vcc
	v_mov_b32_e32 v17, 0xffffff82
	v_cmp_eq_u32_e32 vcc, 0, v7
	v_cndmask_b32_e32 v7, v9, v17, vcc
	v_mov_b32_e32 v9, 0x77
	v_and_b32_e32 v4, 0x7fffff, v3
	v_cndmask_b32_e32 v9, v12, v9, vcc
	v_or_b32_e32 v13, 0x800000, v4
	v_add_u32_e32 v12, 20, v9
	v_cndmask_b32_e32 v4, v13, v4, vcc
	v_lshlrev_b64 v[12:13], v12, -1
	v_mov_b32_e32 v5, 0
	v_not_b32_e32 v12, v12
	v_and_b32_e32 v20, v4, v12
	v_mov_b32_e32 v21, v5
	v_add_u32_e32 v12, 19, v9
	v_lshrrev_b64 v[4:5], v9, v[4:5]
	v_lshlrev_b64 v[22:23], v12, 1
	v_lshrrev_b32_e32 v12, 23, v4
	v_add3_u32 v12, v9, v7, v12
	v_bfe_u32 v7, v4, 20, 1
	v_add_u32_e32 v7, -1, v7
	v_cmp_eq_u64_e32 vcc, v[20:21], v[22:23]
	v_cndmask_b32_e32 v7, 0, v7, vcc
	v_add_u32_e32 v7, v7, v4
	v_and_b32_e32 v7, 0xfffff, v7
	v_add_co_u32_e32 v4, vcc, v7, v4
	v_add_u32_e32 v9, 7, v12
	v_addc_co_u32_e32 v5, vcc, 0, v5, vcc
	v_cmp_ne_u32_e32 vcc, 0, v9
                                        ; implicit-def: $vgpr7
	s_and_saveexec_b64 s[0:1], vcc
	s_xor_b64 s[0:1], exec, s[0:1]
; %bb.69:
	s_mov_b64 s[18:19], 0xffffff
	v_add_u32_e32 v7, 8, v12
	v_cmp_lt_u64_e32 vcc, s[18:19], v[4:5]
	v_cndmask_b32_e32 v7, v9, v7, vcc
	v_cndmask_b32_e64 v9, 0, 1, vcc
	v_lshrrev_b64 v[4:5], v9, v[4:5]
; %bb.70:
	s_andn2_saveexec_b64 s[0:1], s[0:1]
; %bb.71:
	v_bfe_u32 v7, v4, 23, 1
; %bb.72:
	s_or_b64 exec, exec, s[0:1]
	s_movk_i32 s0, 0x80
	v_lshrrev_b64 v[4:5], 20, v[4:5]
	v_cmp_gt_i32_e32 vcc, 16, v7
	v_and_b32_sdwa v3, v3, s0 dst_sel:DWORD dst_unused:UNUSED_PAD src0_sel:BYTE_3 src1_sel:DWORD
	v_min_i32_e32 v9, 15, v7
	v_cndmask_b32_e32 v5, 0, v5, vcc
	v_cndmask_b32_e32 v4, 7, v4, vcc
	v_cmp_eq_u32_e32 vcc, 0, v7
	v_cmp_eq_u64_e64 s[0:1], 0, v[4:5]
	v_lshl_or_b32 v3, v9, 3, v3
	v_and_or_b32 v3, v4, 7, v3
	s_and_b64 s[0:1], vcc, s[0:1]
	v_cndmask_b32_e64 v7, v3, 0, s[0:1]
.LBB0_73:
	s_or_b64 exec, exec, s[10:11]
.LBB0_74:
	s_andn2_saveexec_b64 s[0:1], s[8:9]
	s_or_b64 exec, exec, s[0:1]
.LBB0_75:
	s_andn2_saveexec_b64 s[0:1], s[2:3]
	s_or_b64 exec, exec, s[0:1]
	s_load_dwordx2 s[2:3], s[4:5], 0x10
	s_mov_b32 s0, 0x43600000
	v_mov_b32_e32 v3, 0xc3600000
	v_med3_f32 v4, v2, s0, v3
	s_movk_i32 s0, 0x7f
	v_mov_b32_e32 v3, 0
	v_or_b32_sdwa v5, v4, s0 dst_sel:DWORD dst_unused:UNUSED_PAD src0_sel:BYTE_3 src1_sel:DWORD
	v_and_b32_e32 v2, 0x7f800000, v4
	s_mov_b64 s[0:1], 0x7f800000
	v_cmp_ne_u64_e32 vcc, s[0:1], v[2:3]
	s_and_saveexec_b64 s[0:1], vcc
	s_xor_b64 s[4:5], exec, s[0:1]
	s_cbranch_execz .LBB0_85
; %bb.76:
	v_and_b32_e32 v2, 0x7fffffff, v4
	s_mov_b64 s[0:1], 0x43700001
	v_cmp_gt_u64_e32 vcc, s[0:1], v[2:3]
	s_and_saveexec_b64 s[0:1], vcc
	s_xor_b64 s[8:9], exec, s[0:1]
	s_cbranch_execz .LBB0_84
; %bb.77:
	v_cmp_ne_u32_e32 vcc, 0, v4
	v_mov_b32_e32 v5, 0
	s_and_saveexec_b64 s[10:11], vcc
	s_cbranch_execz .LBB0_83
; %bb.78:
	v_bfe_u32 v5, v4, 23, 8
	s_movk_i32 s0, 0x79
	v_sub_u32_e32 v12, 0x78, v5
	v_cmp_gt_u32_e32 vcc, s0, v5
	v_add_u32_e32 v9, 0xffffff81, v5
	v_cndmask_b32_e32 v12, 0, v12, vcc
	v_mov_b32_e32 v17, 0xffffff82
	v_cmp_eq_u32_e32 vcc, 0, v5
	v_cndmask_b32_e32 v5, v9, v17, vcc
	v_mov_b32_e32 v9, 0x77
	v_and_b32_e32 v2, 0x7fffff, v4
	v_cndmask_b32_e32 v9, v12, v9, vcc
	v_or_b32_e32 v13, 0x800000, v2
	v_add_u32_e32 v12, 20, v9
	v_cndmask_b32_e32 v2, v13, v2, vcc
	v_lshlrev_b64 v[12:13], v12, -1
	v_mov_b32_e32 v3, 0
	v_not_b32_e32 v12, v12
	v_and_b32_e32 v20, v2, v12
	v_mov_b32_e32 v21, v3
	v_add_u32_e32 v12, 19, v9
	v_lshrrev_b64 v[2:3], v9, v[2:3]
	v_lshlrev_b64 v[22:23], v12, 1
	v_lshrrev_b32_e32 v12, 23, v2
	v_add3_u32 v12, v9, v5, v12
	v_bfe_u32 v5, v2, 20, 1
	v_add_u32_e32 v5, -1, v5
	v_cmp_eq_u64_e32 vcc, v[20:21], v[22:23]
	v_cndmask_b32_e32 v5, 0, v5, vcc
	v_add_u32_e32 v5, v5, v2
	v_and_b32_e32 v5, 0xfffff, v5
	v_add_co_u32_e32 v2, vcc, v5, v2
	v_add_u32_e32 v9, 7, v12
	v_addc_co_u32_e32 v3, vcc, 0, v3, vcc
	v_cmp_ne_u32_e32 vcc, 0, v9
                                        ; implicit-def: $vgpr5
	s_and_saveexec_b64 s[0:1], vcc
	s_xor_b64 s[0:1], exec, s[0:1]
; %bb.79:
	s_mov_b64 s[18:19], 0xffffff
	v_add_u32_e32 v5, 8, v12
	v_cmp_lt_u64_e32 vcc, s[18:19], v[2:3]
	v_cndmask_b32_e32 v5, v9, v5, vcc
	v_cndmask_b32_e64 v9, 0, 1, vcc
	v_lshrrev_b64 v[2:3], v9, v[2:3]
; %bb.80:
	s_andn2_saveexec_b64 s[0:1], s[0:1]
; %bb.81:
	v_bfe_u32 v5, v2, 23, 1
; %bb.82:
	s_or_b64 exec, exec, s[0:1]
	s_movk_i32 s0, 0x80
	v_lshrrev_b64 v[2:3], 20, v[2:3]
	v_cmp_gt_i32_e32 vcc, 16, v5
	v_and_b32_sdwa v4, v4, s0 dst_sel:DWORD dst_unused:UNUSED_PAD src0_sel:BYTE_3 src1_sel:DWORD
	v_min_i32_e32 v9, 15, v5
	v_cndmask_b32_e32 v3, 0, v3, vcc
	v_cndmask_b32_e32 v2, 7, v2, vcc
	v_cmp_eq_u32_e32 vcc, 0, v5
	v_cmp_eq_u64_e64 s[0:1], 0, v[2:3]
	v_lshl_or_b32 v3, v9, 3, v4
	v_and_or_b32 v2, v2, 7, v3
	s_and_b64 s[0:1], vcc, s[0:1]
	v_cndmask_b32_e64 v5, v2, 0, s[0:1]
.LBB0_83:
	s_or_b64 exec, exec, s[10:11]
.LBB0_84:
	s_andn2_saveexec_b64 s[0:1], s[8:9]
	s_or_b64 exec, exec, s[0:1]
.LBB0_85:
	s_andn2_saveexec_b64 s[0:1], s[4:5]
	s_or_b64 exec, exec, s[0:1]
	s_cmp_lt_u32 s6, s14
	s_cselect_b32 s0, 12, 18
	s_add_u32 s0, s15, s0
	s_addc_u32 s1, s16, 0
	v_mov_b32_e32 v2, 0
	global_load_ushort v3, v2, s[0:1]
	v_lshlrev_b16_e32 v4, 8, v8
	v_or_b32_sdwa v6, v4, v6 dst_sel:DWORD dst_unused:UNUSED_PAD src0_sel:DWORD src1_sel:BYTE_0
	v_ashrrev_i32_e32 v12, 31, v1
	s_waitcnt lgkmcnt(0)
	v_mov_b32_e32 v13, s3
	v_add_co_u32_e32 v1, vcc, s2, v1
	v_addc_co_u32_e32 v12, vcc, v13, v12, vcc
	v_lshlrev_b16_e32 v8, 8, v14
	v_lshlrev_b16_e32 v9, 8, v18
	;; [unrolled: 1-line block ×3, first 2 shown]
	s_mov_b32 s0, 0x5040100
	v_or_b32_sdwa v8, v8, v15 dst_sel:DWORD dst_unused:UNUSED_PAD src0_sel:DWORD src1_sel:BYTE_0
	v_or_b32_sdwa v9, v9, v16 dst_sel:DWORD dst_unused:UNUSED_PAD src0_sel:DWORD src1_sel:BYTE_0
	;; [unrolled: 1-line block ×3, first 2 shown]
	v_perm_b32 v7, v7, v6, s0
	v_perm_b32 v6, v8, v9, s0
	s_waitcnt vmcnt(0)
	v_readfirstlane_b32 s1, v3
	s_mul_i32 s14, s14, s1
	v_cvt_f32_u32_e32 v4, s14
	s_sub_i32 s1, 0, s14
	s_add_i32 s0, s7, s14
	s_add_i32 s0, s0, -1
	v_rcp_iflag_f32_e32 v13, v4
	v_add_co_u32_e32 v4, vcc, v1, v10
	v_addc_co_u32_e32 v5, vcc, v12, v11, vcc
	v_mul_f32_e32 v1, 0x4f7ffffe, v13
	v_cvt_u32_f32_e32 v1, v1
	global_store_dwordx2 v[4:5], v[6:7], off
	v_readfirstlane_b32 s2, v1
	s_mul_i32 s1, s1, s2
	s_mul_hi_u32 s1, s2, s1
	s_add_i32 s2, s2, s1
	s_mul_hi_u32 s1, s0, s2
	s_mul_i32 s2, s1, s14
	s_sub_i32 s0, s0, s2
	s_add_i32 s3, s1, 1
	s_sub_i32 s2, s0, s14
	s_cmp_ge_u32 s0, s14
	s_cselect_b32 s1, s3, s1
	s_cselect_b32 s0, s2, s0
	s_add_i32 s2, s1, 1
	s_cmp_ge_u32 s0, s14
	s_cselect_b32 s1, s2, s1
	s_cmp_lt_i32 s1, 1
	s_cbranch_scc1 .LBB0_88
; %bb.86:
	s_abs_i32 s0, s7
	v_cvt_f32_u32_e32 v4, s0
	s_add_i32 s1, s1, 7
	v_mul_lo_u32 v5, s6, v3
	s_sub_i32 s2, 0, s0
	v_rcp_iflag_f32_e32 v4, v4
	s_lshr_b32 s1, s1, 3
	v_add_u32_e32 v0, v5, v0
	v_mul_lo_u32 v0, s1, v0
	v_mul_f32_e32 v4, 0x4f7ffffe, v4
	v_cvt_u32_f32_e32 v4, v4
	v_mov_b32_e32 v1, s13
	v_mov_b32_e32 v3, v2
	v_lshlrev_b32_e32 v0, 3, v0
	v_mul_lo_u32 v5, s2, v4
	v_mul_hi_u32 v5, v4, v5
	v_add_u32_e32 v6, v4, v5
	v_mov_b32_e32 v4, v2
	v_mov_b32_e32 v5, v2
.LBB0_87:                               ; =>This Inner Loop Header: Depth=1
	v_sub_u32_e32 v8, 0, v0
	v_max_i32_e32 v8, v0, v8
	v_mul_hi_u32 v9, v8, v6
	v_mul_lo_u32 v9, v9, s0
	v_sub_u32_e32 v8, v8, v9
	v_subrev_u32_e32 v9, s0, v8
	v_cmp_le_u32_e32 vcc, s0, v8
	v_cndmask_b32_e32 v8, v8, v9, vcc
	v_subrev_u32_e32 v9, s0, v8
	v_cmp_le_u32_e32 vcc, s0, v8
	v_ashrrev_i32_e32 v7, 31, v0
	v_cndmask_b32_e32 v8, v8, v9, vcc
	v_xor_b32_e32 v8, v8, v7
	v_sub_u32_e32 v8, v8, v7
	v_ashrrev_i32_e32 v9, 31, v8
	v_lshlrev_b64 v[8:9], 1, v[8:9]
	s_add_i32 s1, s1, -1
	v_add_co_u32_e32 v8, vcc, s12, v8
	v_add_u32_e32 v0, 8, v0
	s_cmp_eq_u32 s1, 0
	v_addc_co_u32_e32 v9, vcc, v1, v9, vcc
	global_store_dwordx4 v[8:9], v[2:5], off
	s_cbranch_scc0 .LBB0_87
.LBB0_88:
	s_endpgm
	.section	.rodata,"a",@progbits
	.p2align	6, 0x0
	.amdhsa_kernel _Z18_swiglu_vectorizedPK6__halfPKfPhPS_iii
		.amdhsa_group_segment_fixed_size 0
		.amdhsa_private_segment_fixed_size 0
		.amdhsa_kernarg_size 304
		.amdhsa_user_sgpr_count 6
		.amdhsa_user_sgpr_private_segment_buffer 1
		.amdhsa_user_sgpr_dispatch_ptr 0
		.amdhsa_user_sgpr_queue_ptr 0
		.amdhsa_user_sgpr_kernarg_segment_ptr 1
		.amdhsa_user_sgpr_dispatch_id 0
		.amdhsa_user_sgpr_flat_scratch_init 0
		.amdhsa_user_sgpr_kernarg_preload_length 0
		.amdhsa_user_sgpr_kernarg_preload_offset 0
		.amdhsa_user_sgpr_private_segment_size 0
		.amdhsa_uses_dynamic_stack 0
		.amdhsa_system_sgpr_private_segment_wavefront_offset 0
		.amdhsa_system_sgpr_workgroup_id_x 1
		.amdhsa_system_sgpr_workgroup_id_y 0
		.amdhsa_system_sgpr_workgroup_id_z 0
		.amdhsa_system_sgpr_workgroup_info 0
		.amdhsa_system_vgpr_workitem_id 0
		.amdhsa_next_free_vgpr 29
		.amdhsa_next_free_sgpr 20
		.amdhsa_accum_offset 32
		.amdhsa_reserve_vcc 1
		.amdhsa_reserve_flat_scratch 0
		.amdhsa_float_round_mode_32 0
		.amdhsa_float_round_mode_16_64 0
		.amdhsa_float_denorm_mode_32 3
		.amdhsa_float_denorm_mode_16_64 3
		.amdhsa_dx10_clamp 1
		.amdhsa_ieee_mode 1
		.amdhsa_fp16_overflow 0
		.amdhsa_tg_split 0
		.amdhsa_exception_fp_ieee_invalid_op 0
		.amdhsa_exception_fp_denorm_src 0
		.amdhsa_exception_fp_ieee_div_zero 0
		.amdhsa_exception_fp_ieee_overflow 0
		.amdhsa_exception_fp_ieee_underflow 0
		.amdhsa_exception_fp_ieee_inexact 0
		.amdhsa_exception_int_div_zero 0
	.end_amdhsa_kernel
	.text
.Lfunc_end0:
	.size	_Z18_swiglu_vectorizedPK6__halfPKfPhPS_iii, .Lfunc_end0-_Z18_swiglu_vectorizedPK6__halfPKfPhPS_iii
                                        ; -- End function
	.section	.AMDGPU.csdata,"",@progbits
; Kernel info:
; codeLenInByte = 6184
; NumSgprs: 24
; NumVgprs: 29
; NumAgprs: 0
; TotalNumVgprs: 29
; ScratchSize: 0
; MemoryBound: 0
; FloatMode: 240
; IeeeMode: 1
; LDSByteSize: 0 bytes/workgroup (compile time only)
; SGPRBlocks: 2
; VGPRBlocks: 3
; NumSGPRsForWavesPerEU: 24
; NumVGPRsForWavesPerEU: 29
; AccumOffset: 32
; Occupancy: 8
; WaveLimiterHint : 0
; COMPUTE_PGM_RSRC2:SCRATCH_EN: 0
; COMPUTE_PGM_RSRC2:USER_SGPR: 6
; COMPUTE_PGM_RSRC2:TRAP_HANDLER: 0
; COMPUTE_PGM_RSRC2:TGID_X_EN: 1
; COMPUTE_PGM_RSRC2:TGID_Y_EN: 0
; COMPUTE_PGM_RSRC2:TGID_Z_EN: 0
; COMPUTE_PGM_RSRC2:TIDIG_COMP_CNT: 0
; COMPUTE_PGM_RSRC3_GFX90A:ACCUM_OFFSET: 7
; COMPUTE_PGM_RSRC3_GFX90A:TG_SPLIT: 0
	.text
	.p2alignl 6, 3212836864
	.fill 256, 4, 3212836864
	.type	__hip_cuid_8ac1c8d7cf7a7c53,@object ; @__hip_cuid_8ac1c8d7cf7a7c53
	.section	.bss,"aw",@nobits
	.globl	__hip_cuid_8ac1c8d7cf7a7c53
__hip_cuid_8ac1c8d7cf7a7c53:
	.byte	0                               ; 0x0
	.size	__hip_cuid_8ac1c8d7cf7a7c53, 1

	.ident	"AMD clang version 19.0.0git (https://github.com/RadeonOpenCompute/llvm-project roc-6.4.0 25133 c7fe45cf4b819c5991fe208aaa96edf142730f1d)"
	.section	".note.GNU-stack","",@progbits
	.addrsig
	.addrsig_sym __hip_cuid_8ac1c8d7cf7a7c53
	.amdgpu_metadata
---
amdhsa.kernels:
  - .agpr_count:     0
    .args:
      - .actual_access:  read_only
        .address_space:  global
        .offset:         0
        .size:           8
        .value_kind:     global_buffer
      - .actual_access:  read_only
        .address_space:  global
        .offset:         8
        .size:           8
        .value_kind:     global_buffer
      - .actual_access:  write_only
        .address_space:  global
        .offset:         16
        .size:           8
        .value_kind:     global_buffer
      - .actual_access:  write_only
        .address_space:  global
        .offset:         24
        .size:           8
        .value_kind:     global_buffer
      - .offset:         32
        .size:           4
        .value_kind:     by_value
      - .offset:         36
        .size:           4
        .value_kind:     by_value
      - .offset:         40
        .size:           4
        .value_kind:     by_value
      - .offset:         48
        .size:           4
        .value_kind:     hidden_block_count_x
      - .offset:         52
        .size:           4
        .value_kind:     hidden_block_count_y
      - .offset:         56
        .size:           4
        .value_kind:     hidden_block_count_z
      - .offset:         60
        .size:           2
        .value_kind:     hidden_group_size_x
      - .offset:         62
        .size:           2
        .value_kind:     hidden_group_size_y
      - .offset:         64
        .size:           2
        .value_kind:     hidden_group_size_z
      - .offset:         66
        .size:           2
        .value_kind:     hidden_remainder_x
      - .offset:         68
        .size:           2
        .value_kind:     hidden_remainder_y
      - .offset:         70
        .size:           2
        .value_kind:     hidden_remainder_z
      - .offset:         88
        .size:           8
        .value_kind:     hidden_global_offset_x
      - .offset:         96
        .size:           8
        .value_kind:     hidden_global_offset_y
      - .offset:         104
        .size:           8
        .value_kind:     hidden_global_offset_z
      - .offset:         112
        .size:           2
        .value_kind:     hidden_grid_dims
    .group_segment_fixed_size: 0
    .kernarg_segment_align: 8
    .kernarg_segment_size: 304
    .language:       OpenCL C
    .language_version:
      - 2
      - 0
    .max_flat_workgroup_size: 1024
    .name:           _Z18_swiglu_vectorizedPK6__halfPKfPhPS_iii
    .private_segment_fixed_size: 0
    .sgpr_count:     24
    .sgpr_spill_count: 0
    .symbol:         _Z18_swiglu_vectorizedPK6__halfPKfPhPS_iii.kd
    .uniform_work_group_size: 1
    .uses_dynamic_stack: false
    .vgpr_count:     29
    .vgpr_spill_count: 0
    .wavefront_size: 64
amdhsa.target:   amdgcn-amd-amdhsa--gfx90a
amdhsa.version:
  - 1
  - 2
...

	.end_amdgpu_metadata
